;; amdgpu-corpus repo=ROCm/rocFFT kind=compiled arch=gfx1030 opt=O3
	.text
	.amdgcn_target "amdgcn-amd-amdhsa--gfx1030"
	.amdhsa_code_object_version 6
	.protected	fft_rtc_fwd_len169_factors_13_13_wgs_156_tpt_13_dp_op_CI_CI_sbrc_z_xy_diag ; -- Begin function fft_rtc_fwd_len169_factors_13_13_wgs_156_tpt_13_dp_op_CI_CI_sbrc_z_xy_diag
	.globl	fft_rtc_fwd_len169_factors_13_13_wgs_156_tpt_13_dp_op_CI_CI_sbrc_z_xy_diag
	.p2align	8
	.type	fft_rtc_fwd_len169_factors_13_13_wgs_156_tpt_13_dp_op_CI_CI_sbrc_z_xy_diag,@function
fft_rtc_fwd_len169_factors_13_13_wgs_156_tpt_13_dp_op_CI_CI_sbrc_z_xy_diag: ; @fft_rtc_fwd_len169_factors_13_13_wgs_156_tpt_13_dp_op_CI_CI_sbrc_z_xy_diag
; %bb.0:
	s_load_dwordx8 s[8:15], s[4:5], 0x0
	v_mul_u32_u24_e32 v1, 0x184, v0
	v_add_nc_u32_e32 v2, 0x9c, v0
	v_add_nc_u32_e32 v3, 0x138, v0
	;; [unrolled: 1-line block ×4, first 2 shown]
	v_lshrrev_b32_e32 v7, 16, v1
	v_mul_u32_u24_e32 v8, 0x184, v2
	v_add_nc_u32_e32 v6, 0x30c, v0
	v_mul_u32_u24_e32 v9, 0x184, v3
	v_mul_u32_u24_e32 v10, 0x184, v4
	;; [unrolled: 1-line block ×3, first 2 shown]
	v_lshrrev_b32_e32 v15, 16, v8
	v_add_nc_u32_e32 v24, 0x3a8, v0
	v_mul_u32_u24_e32 v12, 0xc1f, v6
	v_lshrrev_b32_e32 v21, 16, v9
	v_mul_lo_u16 v14, 0xa9, v7
	v_lshrrev_b32_e32 v26, 16, v10
	v_lshrrev_b32_e32 v27, 16, v11
	v_mul_lo_u16 v9, 0xa9, v15
	s_waitcnt lgkmcnt(0)
	s_load_dwordx4 s[16:19], s[12:13], 0x8
	s_clause 0x1
	s_load_dwordx4 s[0:3], s[4:5], 0x58
	s_load_dwordx2 s[12:13], s[4:5], 0x20
	s_load_dwordx4 s[20:23], s[14:15], 0x0
	s_waitcnt lgkmcnt(0)
	s_load_dword s23, s[14:15], 0x10
	v_mul_u32_u24_e32 v13, 0xc1f, v24
	v_lshrrev_b32_e32 v28, 19, v12
	v_mul_lo_u16 v10, 0xa9, v21
	v_sub_nc_u16 v8, v0, v14
	v_mul_lo_u16 v11, 0xa9, v26
	v_mul_lo_u16 v12, 0xa9, v27
	v_lshrrev_b32_e32 v29, 19, v13
	v_mul_lo_u16 v13, 0xa9, v28
	v_and_b32_e32 v16, 0xffff, v8
	v_mov_b32_e32 v50, 0
	s_mov_b32 s7, 0
	v_add_nc_u32_e32 v25, 0x444, v0
	v_mul_lo_u16 v30, 0xa9, v29
	v_lshl_add_u32 v42, v0, 4, 0
	s_mov_b32 s42, 0x4267c47c
	s_mov_b32 s30, 0x42a4c3d2
	s_add_i32 s4, s16, -1
	s_mov_b32 s34, 0x66966769
	s_mul_hi_u32 s4, s4, 0xaaaaaaab
	v_mul_lo_u32 v49, s22, v7
	s_lshr_b32 s4, s4, 3
	s_mov_b32 s36, 0x4bc48dbf
	s_add_i32 s4, s4, 1
	s_mov_b32 s43, 0xbfddbe06
	s_mul_i32 s5, s4, s18
	s_load_dwordx4 s[16:19], s[12:13], 0x0
	v_cvt_f32_u32_e32 v1, s5
	s_sub_i32 s24, 0, s5
	s_waitcnt lgkmcnt(0)
	s_load_dword s19, s[12:13], 0x10
	s_mov_b32 s31, 0xbfea55e2
	s_mov_b32 s35, 0xbfefc445
	v_rcp_iflag_f32_e32 v1, v1
	s_mov_b32 s37, 0xbfcea1e5
	s_mov_b32 s28, 0x93053d00
	;; [unrolled: 1-line block ×9, first 2 shown]
	v_mul_f32_e32 v1, 0x4f7ffffe, v1
	s_mov_b32 s51, 0x3fcea1e5
	s_mov_b32 s50, s36
	;; [unrolled: 1-line block ×4, first 2 shown]
	v_cvt_u32_f32_e32 v1, v1
	v_readfirstlane_b32 s4, v1
	v_sub_nc_u16 v1, v2, v9
	v_sub_nc_u16 v2, v3, v10
	;; [unrolled: 1-line block ×4, first 2 shown]
	s_mul_i32 s24, s24, s4
	v_and_b32_e32 v17, 0xffff, v1
	s_mul_hi_u32 s24, s4, s24
	v_sub_nc_u16 v5, v6, v13
	s_add_i32 s4, s4, s24
	v_and_b32_e32 v18, 0xffff, v2
	s_mul_hi_u32 s4, s6, s4
	v_and_b32_e32 v19, 0xffff, v3
	s_mul_i32 s24, s4, s5
	s_add_i32 s25, s4, 1
	s_sub_i32 s24, s6, s24
	v_and_b32_e32 v22, 0xffff, v4
	s_sub_i32 s26, s24, s5
	s_cmp_ge_u32 s24, s5
	v_mad_u64_u32 v[1:2], null, s20, v16, 0
	s_cselect_b32 s4, s25, s4
	s_cselect_b32 s24, s26, s24
	s_add_i32 s25, s4, 1
	s_cmp_ge_u32 s24, s5
	v_mad_u64_u32 v[3:4], null, s20, v17, 0
	s_cselect_b32 s4, s25, s4
	s_lshl_b64 s[10:11], s[10:11], 3
	s_mul_i32 s5, s4, s5
	v_and_b32_e32 v23, 0xffff, v5
	s_sub_i32 s5, s6, s5
	v_mad_u64_u32 v[5:6], null, s20, v18, 0
	s_mul_hi_u32 s6, s5, 0x4ec4ec4f
	v_mad_u64_u32 v[7:8], null, s20, v19, 0
	s_lshr_b32 s6, s6, 2
	v_lshlrev_b64 v[13:14], 4, v[49:50]
	s_mul_i32 s24, s6, 13
	v_mul_lo_u32 v49, s22, v15
	s_sub_i32 s33, s5, s24
	v_mad_u64_u32 v[15:16], null, s21, v16, v[2:3]
	s_add_i32 s6, s6, s33
	s_mul_i32 s33, s33, 12
	s_mul_hi_u32 s5, s6, 0x60f25deb
	s_mul_i32 s24, s33, s22
	s_lshr_b32 s5, s5, 6
	s_mul_i32 s25, s17, s33
	s_mulk_i32 s5, 0xa9
	v_mad_u64_u32 v[9:10], null, s20, v22, 0
	s_sub_i32 s52, s6, s5
	s_mul_hi_u32 s5, s16, s33
	s_mul_i32 s6, s52, s23
	s_add_i32 s5, s5, s25
	s_add_i32 s6, s6, s24
	s_add_u32 s14, s14, s10
	s_addc_u32 s15, s15, s11
	v_mad_u64_u32 v[16:17], null, s21, v17, v[4:5]
	s_load_dwordx2 s[14:15], s[14:15], 0x0
	v_mad_u64_u32 v[17:18], null, s21, v18, v[6:7]
	v_mov_b32_e32 v2, v15
	v_mad_u64_u32 v[18:19], null, s21, v19, v[8:9]
	v_mad_u64_u32 v[11:12], null, s20, v23, 0
	v_mov_b32_e32 v4, v16
	v_lshlrev_b64 v[1:2], 4, v[1:2]
	v_mov_b32_e32 v6, v17
	v_lshlrev_b64 v[19:20], 4, v[49:50]
	;; [unrolled: 2-line block ×3, first 2 shown]
	v_mul_lo_u32 v49, s22, v21
	v_mad_u64_u32 v[21:22], null, s21, v22, v[10:11]
	v_lshlrev_b64 v[5:6], 4, v[5:6]
	v_lshlrev_b64 v[7:8], 4, v[7:8]
	v_mad_u64_u32 v[22:23], null, s21, v23, v[12:13]
	s_waitcnt lgkmcnt(0)
	s_mul_i32 s15, s15, s4
	s_mul_hi_u32 s23, s14, s4
	s_mul_i32 s14, s14, s4
	s_add_i32 s15, s23, s15
	s_add_u32 s10, s12, s10
	s_addc_u32 s11, s13, s11
	v_lshlrev_b64 v[15:16], 4, v[49:50]
	s_load_dwordx2 s[10:11], s[10:11], 0x0
	s_lshl_b64 s[12:13], s[14:15], 4
	v_mul_lo_u32 v49, s22, v26
	v_mov_b32_e32 v10, v21
	s_mov_b32 s26, 0x24c2f84
	s_mov_b32 s27, 0xbfe5384d
	;; [unrolled: 1-line block ×4, first 2 shown]
	v_lshlrev_b64 v[9:10], 4, v[9:10]
	s_mov_b32 s25, 0x3fec55a7
	v_lshlrev_b64 v[17:18], 4, v[49:50]
	v_mul_lo_u32 v49, s22, v27
	s_mov_b32 s15, 0x3fe22d96
	s_mov_b32 s44, s26
	s_waitcnt lgkmcnt(0)
	s_mul_i32 s11, s11, s4
	s_mul_hi_u32 s23, s10, s4
	s_mul_i32 s10, s10, s4
	s_add_i32 s11, s23, s11
	s_add_u32 s12, s0, s12
	s_addc_u32 s13, s1, s13
	s_lshl_b64 s[0:1], s[6:7], 4
	s_mul_i32 s4, s16, s33
	s_add_u32 s0, s12, s0
	s_addc_u32 s1, s13, s1
	v_add_co_u32 v1, vcc_lo, s0, v1
	v_add_co_ci_u32_e32 v2, vcc_lo, s1, v2, vcc_lo
	v_add_co_u32 v3, vcc_lo, s0, v3
	v_add_co_ci_u32_e32 v4, vcc_lo, s1, v4, vcc_lo
	;; [unrolled: 2-line block ×7, first 2 shown]
	v_add_co_u32 v15, vcc_lo, v7, v17
	v_mul_u32_u24_e32 v7, 0xc1f, v25
	v_mov_b32_e32 v12, v22
	v_sub_nc_u16 v3, v24, v30
	v_add_co_ci_u32_e32 v16, vcc_lo, v8, v18, vcc_lo
	v_lshrrev_b32_e32 v20, 19, v7
	v_add_co_u32 v17, vcc_lo, s0, v9
	v_add_co_ci_u32_e32 v18, vcc_lo, s1, v10, vcc_lo
	v_lshlrev_b64 v[9:10], 4, v[11:12]
	v_mul_lo_u16 v11, 0xa9, v20
	v_and_b32_e32 v19, 0xffff, v3
	v_lshlrev_b64 v[3:4], 4, v[49:50]
	v_mul_lo_u32 v49, s22, v28
	v_add_nc_u32_e32 v12, 0x4e0, v0
	v_sub_nc_u16 v11, v25, v11
	v_mad_u64_u32 v[7:8], null, s20, v19, 0
	v_add_co_u32 v17, vcc_lo, v17, v3
	v_and_b32_e32 v11, 0xffff, v11
	v_add_co_ci_u32_e32 v18, vcc_lo, v18, v4, vcc_lo
	v_add_co_u32 v21, vcc_lo, s0, v9
	v_mad_u64_u32 v[8:9], null, s21, v19, v[8:9]
	v_add_co_ci_u32_e32 v22, vcc_lo, s1, v10, vcc_lo
	v_mad_u64_u32 v[9:10], null, s20, v11, 0
	v_mul_u32_u24_e32 v23, 0xc1f, v12
	v_lshlrev_b64 v[3:4], 4, v[49:50]
	v_add_nc_u32_e32 v19, 0x57c, v0
	v_mul_lo_u32 v49, s22, v29
	v_lshlrev_b64 v[7:8], 4, v[7:8]
	v_lshrrev_b32_e32 v23, 19, v23
	v_add_nc_u32_e32 v29, 0x750, v0
	v_add_co_u32 v21, vcc_lo, v21, v3
	v_mov_b32_e32 v3, v10
	v_mul_lo_u16 v10, 0xa9, v23
	v_add_co_ci_u32_e32 v22, vcc_lo, v22, v4, vcc_lo
	v_mul_u32_u24_e32 v30, 0xc1f, v29
	v_mad_u64_u32 v[3:4], null, s21, v11, v[3:4]
	v_mul_u32_u24_e32 v11, 0xc1f, v19
	v_sub_nc_u16 v4, v12, v10
	v_add_co_u32 v12, vcc_lo, s0, v7
	v_add_co_ci_u32_e32 v24, vcc_lo, s1, v8, vcc_lo
	v_lshrrev_b32_e32 v11, 19, v11
	v_and_b32_e32 v27, 0xffff, v4
	v_lshlrev_b64 v[7:8], 4, v[49:50]
	v_mov_b32_e32 v10, v3
	v_mul_lo_u32 v49, s22, v20
	v_mul_lo_u16 v20, 0xa9, v11
	v_mad_u64_u32 v[3:4], null, s20, v27, 0
	v_lshlrev_b64 v[9:10], 4, v[9:10]
	v_add_co_u32 v25, vcc_lo, v12, v7
	v_add_co_ci_u32_e32 v26, vcc_lo, v24, v8, vcc_lo
	v_add_nc_u32_e32 v24, 0x618, v0
	v_sub_nc_u16 v12, v19, v20
	v_add_co_u32 v19, vcc_lo, s0, v9
	v_lshlrev_b64 v[7:8], 4, v[49:50]
	v_add_co_ci_u32_e32 v20, vcc_lo, s1, v10, vcc_lo
	v_mad_u64_u32 v[9:10], null, s21, v27, v[4:5]
	v_mul_u32_u24_e32 v4, 0xc1f, v24
	v_and_b32_e32 v10, 0xffff, v12
	v_add_nc_u32_e32 v12, 0x6b4, v0
	v_add_co_u32 v27, vcc_lo, v19, v7
	v_lshrrev_b32_e32 v39, 19, v4
	v_add_co_ci_u32_e32 v28, vcc_lo, v20, v8, vcc_lo
	v_mul_u32_u24_e32 v8, 0xc1f, v12
	v_mad_u64_u32 v[19:20], null, s20, v10, 0
	v_mul_lo_u16 v7, 0xa9, v39
	v_lshrrev_b32_e32 v41, 19, v30
	v_lshrrev_b32_e32 v40, 19, v8
	v_mov_b32_e32 v4, v9
	v_mul_lo_u32 v49, s22, v23
	v_sub_nc_u16 v9, v24, v7
	v_mov_b32_e32 v7, v20
	v_mul_lo_u16 v20, 0xa9, v40
	v_mul_lo_u16 v30, 0xa9, v41
	v_lshlrev_b64 v[3:4], 4, v[3:4]
	v_and_b32_e32 v9, 0xffff, v9
	v_mad_u64_u32 v[7:8], null, s21, v10, v[7:8]
	v_sub_nc_u16 v8, v12, v20
	v_sub_nc_u16 v10, v29, v30
	v_mad_u64_u32 v[23:24], null, s20, v9, 0
	v_add_co_u32 v12, vcc_lo, s0, v3
	v_and_b32_e32 v37, 0xffff, v8
	v_and_b32_e32 v38, 0xffff, v10
	v_mov_b32_e32 v20, v7
	v_add_co_ci_u32_e32 v34, vcc_lo, s1, v4, vcc_lo
	v_mad_u64_u32 v[29:30], null, s20, v37, 0
	v_mad_u64_u32 v[31:32], null, s20, v38, 0
	v_mov_b32_e32 v7, v24
	v_lshlrev_b64 v[3:4], 4, v[49:50]
	v_mul_lo_u32 v49, s22, v11
	v_lshlrev_b64 v[19:20], 4, v[19:20]
	s_mov_b32 s12, 0xb2365da1
	v_mad_u64_u32 v[35:36], null, s21, v9, v[7:8]
	v_mov_b32_e32 v9, v30
	v_mov_b32_e32 v10, v32
	v_add_co_u32 v33, vcc_lo, v12, v3
	v_add_co_ci_u32_e32 v34, vcc_lo, v34, v4, vcc_lo
	s_clause 0x1
	global_load_dwordx4 v[1:4], v[1:2], off
	global_load_dwordx4 v[5:8], v[5:6], off
	v_mad_u64_u32 v[36:37], null, s21, v37, v[9:10]
	v_mad_u64_u32 v[37:38], null, s21, v38, v[10:11]
	s_clause 0x1
	global_load_dwordx4 v[9:12], v[13:14], off
	global_load_dwordx4 v[13:16], v[15:16], off
	v_mov_b32_e32 v24, v35
	s_mov_b32 s20, 0x2ef20147
	v_mov_b32_e32 v30, v36
	v_lshlrev_b64 v[35:36], 4, v[49:50]
	v_mul_lo_u32 v49, s22, v39
	v_add_co_u32 v39, vcc_lo, s0, v19
	v_mov_b32_e32 v32, v37
	v_lshlrev_b64 v[23:24], 4, v[23:24]
	s_mov_b32 s21, 0xbfedeba7
	s_mov_b32 s13, 0xbfd6b1d8
	;; [unrolled: 1-line block ×3, first 2 shown]
	v_lshlrev_b64 v[37:38], 4, v[49:50]
	v_mul_lo_u32 v49, s22, v40
	v_add_co_ci_u32_e32 v40, vcc_lo, s1, v20, vcc_lo
	v_lshlrev_b64 v[19:20], 4, v[29:30]
	v_add_co_u32 v29, vcc_lo, v39, v35
	v_add_co_ci_u32_e32 v30, vcc_lo, v40, v36, vcc_lo
	v_add_co_u32 v39, vcc_lo, s0, v23
	v_add_co_ci_u32_e32 v40, vcc_lo, s1, v24, vcc_lo
	v_lshlrev_b64 v[35:36], 4, v[49:50]
	v_mul_lo_u32 v49, s22, v41
	v_lshlrev_b64 v[23:24], 4, v[31:32]
	v_add_co_u32 v37, vcc_lo, v39, v37
	v_add_co_ci_u32_e32 v38, vcc_lo, v40, v38, vcc_lo
	v_add_co_u32 v19, vcc_lo, s0, v19
	v_add_co_ci_u32_e32 v20, vcc_lo, s1, v20, vcc_lo
	v_lshlrev_b64 v[31:32], 4, v[49:50]
	v_add_co_u32 v23, vcc_lo, s0, v23
	v_add_co_ci_u32_e32 v24, vcc_lo, s1, v24, vcc_lo
	v_add_co_u32 v35, vcc_lo, v19, v35
	v_add_co_ci_u32_e32 v36, vcc_lo, v20, v36, vcc_lo
	v_add_co_u32 v39, vcc_lo, v23, v31
	v_add_co_ci_u32_e32 v40, vcc_lo, v24, v32, vcc_lo
	s_clause 0x1
	global_load_dwordx4 v[17:20], v[17:18], off
	global_load_dwordx4 v[21:24], v[21:22], off
	s_mov_b32 s0, 0xebaa3ed8
	s_mov_b32 s22, 0xd0032e0c
	;; [unrolled: 1-line block ×4, first 2 shown]
	s_mul_i32 s6, s52, s18
	s_waitcnt vmcnt(5)
	ds_write_b128 v42, v[1:4]
	s_clause 0x1
	global_load_dwordx4 v[1:4], v[25:26], off
	global_load_dwordx4 v[25:28], v[27:28], off
	s_waitcnt vmcnt(6)
	ds_write_b128 v42, v[5:8] offset:2496
	s_clause 0x1
	global_load_dwordx4 v[5:8], v[33:34], off
	global_load_dwordx4 v[29:32], v[29:30], off
	s_waitcnt vmcnt(7)
	ds_write_b128 v42, v[9:12] offset:4992
	s_clause 0x2
	global_load_dwordx4 v[9:12], v[37:38], off
	global_load_dwordx4 v[33:36], v[35:36], off
	;; [unrolled: 1-line block ×3, first 2 shown]
	s_waitcnt vmcnt(9)
	ds_write_b128 v42, v[13:16] offset:7488
	v_mul_u32_u24_e32 v13, 0x13b2, v0
	v_mov_b32_e32 v16, 0xa9
	s_waitcnt vmcnt(8)
	ds_write_b128 v42, v[17:20] offset:9984
	s_waitcnt vmcnt(7)
	ds_write_b128 v42, v[21:24] offset:12480
	;; [unrolled: 2-line block ×9, first 2 shown]
	v_lshrrev_b32_e32 v13, 16, v13
	s_waitcnt lgkmcnt(0)
	s_barrier
	buffer_gl0_inv
	v_add_nc_u32_e32 v14, s33, v13
	v_mul_lo_u16 v13, v13, 13
	v_and_b32_e32 v15, 0xff, v14
	v_sub_nc_u16 v13, v0, v13
	v_mul_lo_u16 v15, 0xab, v15
	v_and_b32_e32 v116, 0xffff, v13
	v_lshrrev_b16 v15, 11, v15
	v_mul_lo_u16 v15, v15, 12
	v_sub_nc_u16 v14, v14, v15
	v_mul_u32_u24_sdwa v14, v14, v16 dst_sel:DWORD dst_unused:UNUSED_PAD src0_sel:BYTE_0 src1_sel:DWORD
	v_lshlrev_b32_e32 v13, 4, v14
	v_lshlrev_b32_e32 v14, 4, v116
	v_add_nc_u32_e32 v117, 0, v13
	v_add3_u32 v115, 0, v14, v13
	v_add_nc_u32_e32 v49, v117, v14
	ds_read_b128 v[5:8], v49
	ds_read_b128 v[1:4], v115 offset:208
	ds_read_b128 v[9:12], v115 offset:416
	;; [unrolled: 1-line block ×3, first 2 shown]
	s_waitcnt lgkmcnt(2)
	v_add_f64 v[17:18], v[5:6], v[1:2]
	v_add_f64 v[19:20], v[7:8], v[3:4]
	s_waitcnt lgkmcnt(1)
	v_add_f64 v[17:18], v[17:18], v[9:10]
	v_add_f64 v[19:20], v[19:20], v[11:12]
	;; [unrolled: 3-line block ×3, first 2 shown]
	ds_read_b128 v[17:20], v115 offset:832
	ds_read_b128 v[21:24], v115 offset:1040
	s_waitcnt lgkmcnt(1)
	v_add_f64 v[25:26], v[25:26], v[17:18]
	v_add_f64 v[27:28], v[27:28], v[19:20]
	s_waitcnt lgkmcnt(0)
	v_add_f64 v[33:34], v[25:26], v[21:22]
	v_add_f64 v[35:36], v[27:28], v[23:24]
	ds_read_b128 v[25:28], v115 offset:1248
	ds_read_b128 v[29:32], v115 offset:1456
	s_waitcnt lgkmcnt(1)
	v_add_f64 v[33:34], v[33:34], v[25:26]
	v_add_f64 v[35:36], v[35:36], v[27:28]
	s_waitcnt lgkmcnt(0)
	v_add_f64 v[41:42], v[25:26], v[29:30]
	v_add_f64 v[43:44], v[27:28], v[31:32]
	v_add_f64 v[63:64], v[25:26], -v[29:30]
	v_add_f64 v[65:66], v[27:28], -v[31:32]
	v_add_f64 v[33:34], v[33:34], v[29:30]
	v_add_f64 v[35:36], v[35:36], v[31:32]
	ds_read_b128 v[25:28], v115 offset:1664
	ds_read_b128 v[29:32], v115 offset:1872
	v_mul_f64 v[136:137], v[65:66], s[40:41]
	s_waitcnt lgkmcnt(1)
	v_add_f64 v[45:46], v[21:22], v[25:26]
	v_add_f64 v[47:48], v[23:24], v[27:28]
	v_add_f64 v[67:68], v[21:22], -v[25:26]
	v_add_f64 v[69:70], v[23:24], -v[27:28]
	v_add_f64 v[21:22], v[33:34], v[25:26]
	v_add_f64 v[23:24], v[35:36], v[27:28]
	s_waitcnt lgkmcnt(0)
	v_add_f64 v[51:52], v[17:18], v[29:30]
	v_add_f64 v[53:54], v[19:20], v[31:32]
	v_add_f64 v[71:72], v[17:18], -v[29:30]
	v_add_f64 v[73:74], v[19:20], -v[31:32]
	v_add_f64 v[25:26], v[21:22], v[29:30]
	v_add_f64 v[27:28], v[23:24], v[31:32]
	ds_read_b128 v[17:20], v115 offset:2080
	ds_read_b128 v[21:24], v115 offset:2288
	s_waitcnt lgkmcnt(1)
	v_add_f64 v[57:58], v[13:14], v[17:18]
	v_add_f64 v[55:56], v[15:16], v[19:20]
	v_add_f64 v[75:76], v[13:14], -v[17:18]
	v_add_f64 v[77:78], v[15:16], -v[19:20]
	v_add_f64 v[13:14], v[25:26], v[17:18]
	v_add_f64 v[15:16], v[27:28], v[19:20]
	s_waitcnt lgkmcnt(0)
	v_add_f64 v[61:62], v[9:10], v[21:22]
	v_add_f64 v[59:60], v[11:12], v[23:24]
	v_add_f64 v[79:80], v[9:10], -v[21:22]
	v_add_f64 v[81:82], v[11:12], -v[23:24]
	ds_read_b128 v[9:12], v115 offset:2496
	s_waitcnt lgkmcnt(0)
	s_barrier
	buffer_gl0_inv
	v_add_f64 v[13:14], v[13:14], v[21:22]
	v_add_f64 v[15:16], v[15:16], v[23:24]
	v_add_f64 v[17:18], v[3:4], -v[11:12]
	v_add_f64 v[19:20], v[1:2], v[9:10]
	v_add_f64 v[21:22], v[3:4], v[11:12]
	v_add_f64 v[23:24], v[1:2], -v[9:10]
	v_mul_f64 v[107:108], v[81:82], s[30:31]
	v_mul_f64 v[109:110], v[79:80], s[30:31]
	v_add_f64 v[1:2], v[13:14], v[9:10]
	v_add_f64 v[3:4], v[15:16], v[11:12]
	v_mul_f64 v[9:10], v[17:18], s[42:43]
	v_mul_f64 v[11:12], v[17:18], s[30:31]
	;; [unrolled: 1-line block ×10, first 2 shown]
	v_fma_f64 v[27:28], v[19:20], s[24:25], -v[9:10]
	v_fma_f64 v[9:10], v[19:20], s[24:25], v[9:10]
	v_fma_f64 v[29:30], v[19:20], s[14:15], -v[11:12]
	v_fma_f64 v[11:12], v[19:20], s[14:15], v[11:12]
	;; [unrolled: 2-line block ×6, first 2 shown]
	v_mul_f64 v[19:20], v[23:24], s[42:43]
	v_mul_f64 v[23:24], v[23:24], s[36:37]
	v_fma_f64 v[93:94], v[21:22], s[0:1], v[39:40]
	v_fma_f64 v[39:40], v[21:22], s[0:1], -v[39:40]
	v_fma_f64 v[95:96], v[21:22], s[12:13], v[85:86]
	v_fma_f64 v[91:92], v[21:22], s[14:15], v[37:38]
	v_fma_f64 v[37:38], v[21:22], s[14:15], -v[37:38]
	v_fma_f64 v[85:86], v[21:22], s[12:13], -v[85:86]
	v_fma_f64 v[97:98], v[21:22], s[22:23], v[87:88]
	v_fma_f64 v[87:88], v[21:22], s[22:23], -v[87:88]
	v_add_f64 v[101:102], v[5:6], v[9:10]
	v_add_f64 v[120:121], v[5:6], v[11:12]
	;; [unrolled: 1-line block ×6, first 2 shown]
	v_mul_f64 v[15:16], v[79:80], s[20:21]
	v_add_f64 v[31:32], v[5:6], v[25:26]
	v_add_f64 v[113:114], v[5:6], v[83:84]
	;; [unrolled: 1-line block ×3, first 2 shown]
	v_fma_f64 v[89:90], v[21:22], s[24:25], v[19:20]
	v_fma_f64 v[19:20], v[21:22], s[24:25], -v[19:20]
	v_fma_f64 v[103:104], v[21:22], s[28:29], v[23:24]
	v_fma_f64 v[21:22], v[21:22], s[28:29], -v[23:24]
	v_add_f64 v[23:24], v[5:6], v[27:28]
	v_add_f64 v[128:129], v[7:8], v[39:40]
	v_add_f64 v[130:131], v[7:8], v[95:96]
	v_add_f64 v[39:40], v[5:6], v[35:36]
	v_mul_f64 v[95:96], v[77:78], s[34:35]
	v_add_f64 v[118:119], v[7:8], v[91:92]
	v_add_f64 v[122:123], v[7:8], v[37:38]
	;; [unrolled: 1-line block ×5, first 2 shown]
	v_mul_f64 v[97:98], v[75:76], s[34:35]
	v_mul_f64 v[91:92], v[73:74], s[20:21]
	;; [unrolled: 1-line block ×5, first 2 shown]
	v_fma_f64 v[17:18], v[59:60], s[12:13], v[15:16]
	v_mul_f64 v[25:26], v[73:74], s[44:45]
	v_fma_f64 v[15:16], v[59:60], s[12:13], -v[15:16]
	v_add_f64 v[27:28], v[7:8], v[89:90]
	v_add_f64 v[99:100], v[7:8], v[19:20]
	;; [unrolled: 1-line block ×3, first 2 shown]
	v_fma_f64 v[5:6], v[61:62], s[14:15], -v[107:108]
	v_add_f64 v[29:30], v[7:8], v[87:88]
	v_add_f64 v[111:112], v[7:8], v[103:104]
	;; [unrolled: 1-line block ×3, first 2 shown]
	v_fma_f64 v[7:8], v[59:60], s[14:15], v[109:110]
	v_fma_f64 v[9:10], v[57:58], s[0:1], -v[95:96]
	v_mul_f64 v[87:88], v[69:70], s[26:27]
	v_mul_f64 v[89:90], v[67:68], s[26:27]
	;; [unrolled: 1-line block ×4, first 2 shown]
	v_add_f64 v[17:18], v[17:18], v[118:119]
	v_mul_f64 v[118:119], v[67:68], s[38:39]
	v_add_f64 v[15:16], v[15:16], v[122:123]
	v_mul_f64 v[122:123], v[71:72], s[40:41]
	;; [unrolled: 2-line block ×4, first 2 shown]
	v_add_f64 v[5:6], v[9:10], v[5:6]
	v_fma_f64 v[9:10], v[55:56], s[0:1], v[97:98]
	v_add_f64 v[7:8], v[9:10], v[7:8]
	v_fma_f64 v[9:10], v[51:52], s[12:13], -v[91:92]
	v_add_f64 v[5:6], v[9:10], v[5:6]
	v_fma_f64 v[9:10], v[53:54], s[12:13], v[93:94]
	v_add_f64 v[7:8], v[9:10], v[7:8]
	v_fma_f64 v[9:10], v[45:46], s[22:23], -v[87:88]
	v_add_f64 v[5:6], v[9:10], v[5:6]
	v_fma_f64 v[9:10], v[47:48], s[22:23], v[89:90]
	v_add_f64 v[7:8], v[9:10], v[7:8]
	v_fma_f64 v[9:10], v[41:42], s[28:29], -v[83:84]
	v_add_f64 v[9:10], v[9:10], v[5:6]
	v_fma_f64 v[5:6], v[43:44], s[28:29], v[85:86]
	v_add_f64 v[11:12], v[5:6], v[7:8]
	v_mul_f64 v[5:6], v[81:82], s[20:21]
	v_fma_f64 v[7:8], v[61:62], s[12:13], -v[5:6]
	v_fma_f64 v[5:6], v[61:62], s[12:13], v[5:6]
	v_add_f64 v[7:8], v[7:8], v[19:20]
	v_fma_f64 v[19:20], v[57:58], s[28:29], -v[21:22]
	v_add_f64 v[5:6], v[5:6], v[120:121]
	v_fma_f64 v[21:22], v[57:58], s[28:29], v[21:22]
	v_mul_f64 v[120:121], v[73:74], s[40:41]
	v_add_f64 v[7:8], v[19:20], v[7:8]
	v_fma_f64 v[19:20], v[55:56], s[28:29], v[23:24]
	v_add_f64 v[5:6], v[21:22], v[5:6]
	v_fma_f64 v[21:22], v[55:56], s[28:29], -v[23:24]
	v_mul_f64 v[23:24], v[79:80], s[36:37]
	v_add_f64 v[17:18], v[19:20], v[17:18]
	v_fma_f64 v[19:20], v[51:52], s[22:23], -v[25:26]
	v_add_f64 v[15:16], v[21:22], v[15:16]
	v_fma_f64 v[21:22], v[51:52], s[22:23], v[25:26]
	v_fma_f64 v[25:26], v[59:60], s[28:29], v[23:24]
	v_add_f64 v[7:8], v[19:20], v[7:8]
	v_fma_f64 v[19:20], v[53:54], s[22:23], v[27:28]
	v_add_f64 v[5:6], v[21:22], v[5:6]
	v_fma_f64 v[21:22], v[53:54], s[22:23], -v[27:28]
	v_add_f64 v[25:26], v[25:26], v[126:127]
	v_mul_f64 v[126:127], v[67:68], s[30:31]
	v_add_f64 v[17:18], v[19:20], v[17:18]
	v_fma_f64 v[19:20], v[45:46], s[0:1], -v[35:36]
	v_add_f64 v[15:16], v[21:22], v[15:16]
	v_fma_f64 v[21:22], v[45:46], s[0:1], v[35:36]
	v_mul_f64 v[35:36], v[77:78], s[48:49]
	v_add_f64 v[7:8], v[19:20], v[7:8]
	v_fma_f64 v[19:20], v[47:48], s[0:1], v[118:119]
	v_add_f64 v[5:6], v[21:22], v[5:6]
	v_fma_f64 v[21:22], v[47:48], s[0:1], -v[118:119]
	v_fma_f64 v[27:28], v[57:58], s[12:13], -v[35:36]
	v_mul_f64 v[118:119], v[75:76], s[48:49]
	v_add_f64 v[19:20], v[19:20], v[17:18]
	v_fma_f64 v[17:18], v[41:42], s[24:25], -v[136:137]
	v_add_f64 v[15:16], v[21:22], v[15:16]
	v_fma_f64 v[21:22], v[41:42], s[24:25], v[136:137]
	v_mul_f64 v[136:137], v[65:66], s[26:27]
	v_add_f64 v[17:18], v[17:18], v[7:8]
	v_mul_f64 v[7:8], v[63:64], s[40:41]
	v_add_f64 v[5:6], v[21:22], v[5:6]
	v_fma_f64 v[138:139], v[43:44], s[24:25], v[7:8]
	v_fma_f64 v[7:8], v[43:44], s[24:25], -v[7:8]
	v_add_f64 v[19:20], v[138:139], v[19:20]
	v_add_f64 v[7:8], v[7:8], v[15:16]
	v_mul_f64 v[15:16], v[81:82], s[36:37]
	v_fma_f64 v[21:22], v[61:62], s[28:29], -v[15:16]
	v_fma_f64 v[15:16], v[61:62], s[28:29], v[15:16]
	v_add_f64 v[21:22], v[21:22], v[124:125]
	v_add_f64 v[13:14], v[15:16], v[13:14]
	v_fma_f64 v[15:16], v[59:60], s[28:29], -v[23:24]
	v_fma_f64 v[23:24], v[57:58], s[12:13], v[35:36]
	v_mul_f64 v[124:125], v[69:70], s[30:31]
	v_add_f64 v[21:22], v[27:28], v[21:22]
	v_fma_f64 v[27:28], v[55:56], s[12:13], v[118:119]
	v_add_f64 v[15:16], v[15:16], v[128:129]
	v_add_f64 v[13:14], v[23:24], v[13:14]
	v_fma_f64 v[23:24], v[55:56], s[12:13], -v[118:119]
	v_mul_f64 v[118:119], v[79:80], s[44:45]
	v_mul_f64 v[128:129], v[69:70], s[50:51]
	v_add_f64 v[25:26], v[27:28], v[25:26]
	v_fma_f64 v[27:28], v[51:52], s[24:25], -v[120:121]
	v_add_f64 v[15:16], v[23:24], v[15:16]
	v_fma_f64 v[23:24], v[51:52], s[24:25], v[120:121]
	v_mul_f64 v[120:121], v[77:78], s[40:41]
	v_add_f64 v[21:22], v[27:28], v[21:22]
	v_fma_f64 v[27:28], v[53:54], s[24:25], v[122:123]
	v_add_f64 v[13:14], v[23:24], v[13:14]
	v_fma_f64 v[23:24], v[53:54], s[24:25], -v[122:123]
	v_fma_f64 v[35:36], v[57:58], s[24:25], -v[120:121]
	v_mul_f64 v[122:123], v[75:76], s[40:41]
	v_fma_f64 v[120:121], v[57:58], s[24:25], v[120:121]
	v_add_f64 v[25:26], v[27:28], v[25:26]
	v_fma_f64 v[27:28], v[45:46], s[14:15], -v[124:125]
	v_add_f64 v[15:16], v[23:24], v[15:16]
	v_fma_f64 v[23:24], v[45:46], s[14:15], v[124:125]
	v_mul_f64 v[124:125], v[73:74], s[34:35]
	v_add_f64 v[21:22], v[27:28], v[21:22]
	v_fma_f64 v[27:28], v[47:48], s[14:15], v[126:127]
	v_add_f64 v[13:14], v[23:24], v[13:14]
	v_fma_f64 v[23:24], v[47:48], s[14:15], -v[126:127]
	v_mul_f64 v[126:127], v[71:72], s[34:35]
	v_add_f64 v[27:28], v[27:28], v[25:26]
	v_fma_f64 v[25:26], v[41:42], s[22:23], -v[136:137]
	v_add_f64 v[15:16], v[23:24], v[15:16]
	v_fma_f64 v[23:24], v[41:42], s[22:23], v[136:137]
	v_mul_f64 v[136:137], v[65:66], s[46:47]
	v_add_f64 v[25:26], v[25:26], v[21:22]
	v_mul_f64 v[21:22], v[63:64], s[26:27]
	v_add_f64 v[13:14], v[23:24], v[13:14]
	v_fma_f64 v[138:139], v[43:44], s[22:23], v[21:22]
	v_fma_f64 v[21:22], v[43:44], s[22:23], -v[21:22]
	v_add_f64 v[27:28], v[138:139], v[27:28]
	v_add_f64 v[15:16], v[21:22], v[15:16]
	v_mul_f64 v[21:22], v[81:82], s[44:45]
	v_fma_f64 v[23:24], v[61:62], s[22:23], -v[21:22]
	v_fma_f64 v[21:22], v[61:62], s[22:23], v[21:22]
	v_add_f64 v[23:24], v[23:24], v[33:34]
	v_fma_f64 v[33:34], v[59:60], s[22:23], v[118:119]
	v_add_f64 v[21:22], v[21:22], v[132:133]
	v_fma_f64 v[118:119], v[59:60], s[22:23], -v[118:119]
	v_add_f64 v[23:24], v[35:36], v[23:24]
	v_add_f64 v[33:34], v[33:34], v[130:131]
	v_fma_f64 v[35:36], v[55:56], s[24:25], v[122:123]
	v_add_f64 v[118:119], v[118:119], v[134:135]
	v_add_f64 v[21:22], v[120:121], v[21:22]
	v_fma_f64 v[120:121], v[55:56], s[24:25], -v[122:123]
	v_mul_f64 v[130:131], v[67:68], s[50:51]
	v_add_f64 v[33:34], v[35:36], v[33:34]
	v_fma_f64 v[35:36], v[51:52], s[0:1], -v[124:125]
	v_add_f64 v[118:119], v[120:121], v[118:119]
	v_fma_f64 v[120:121], v[51:52], s[0:1], v[124:125]
	v_add_f64 v[23:24], v[35:36], v[23:24]
	v_fma_f64 v[35:36], v[53:54], s[0:1], v[126:127]
	v_add_f64 v[21:22], v[120:121], v[21:22]
	v_fma_f64 v[120:121], v[53:54], s[0:1], -v[126:127]
	v_add_f64 v[33:34], v[35:36], v[33:34]
	v_fma_f64 v[35:36], v[45:46], s[28:29], -v[128:129]
	v_add_f64 v[118:119], v[120:121], v[118:119]
	v_fma_f64 v[120:121], v[45:46], s[28:29], v[128:129]
	v_add_f64 v[23:24], v[35:36], v[23:24]
	v_fma_f64 v[35:36], v[47:48], s[28:29], v[130:131]
	v_add_f64 v[21:22], v[120:121], v[21:22]
	v_fma_f64 v[120:121], v[47:48], s[28:29], -v[130:131]
	v_add_f64 v[35:36], v[35:36], v[33:34]
	v_fma_f64 v[33:34], v[41:42], s[14:15], -v[136:137]
	v_add_f64 v[118:119], v[120:121], v[118:119]
	v_fma_f64 v[120:121], v[41:42], s[14:15], v[136:137]
	v_mul_f64 v[136:137], v[65:66], s[20:21]
	v_add_f64 v[33:34], v[33:34], v[23:24]
	v_mul_f64 v[23:24], v[63:64], s[46:47]
	v_add_f64 v[21:22], v[120:121], v[21:22]
	v_fma_f64 v[138:139], v[43:44], s[14:15], v[23:24]
	v_fma_f64 v[23:24], v[43:44], s[14:15], -v[23:24]
	v_add_f64 v[35:36], v[138:139], v[35:36]
	v_add_f64 v[23:24], v[23:24], v[118:119]
	v_mul_f64 v[118:119], v[81:82], s[38:39]
	v_mul_f64 v[138:139], v[63:64], s[20:21]
	;; [unrolled: 1-line block ×3, first 2 shown]
	v_fma_f64 v[120:121], v[61:62], s[0:1], -v[118:119]
	v_fma_f64 v[118:119], v[61:62], s[0:1], v[118:119]
	v_add_f64 v[39:40], v[120:121], v[39:40]
	v_mul_f64 v[120:121], v[79:80], s[38:39]
	v_add_f64 v[31:32], v[118:119], v[31:32]
	v_mul_f64 v[79:80], v[79:80], s[40:41]
	v_fma_f64 v[122:123], v[59:60], s[0:1], v[120:121]
	v_fma_f64 v[118:119], v[59:60], s[0:1], -v[120:121]
	v_fma_f64 v[120:121], v[43:44], s[12:13], -v[138:139]
	v_add_f64 v[37:38], v[122:123], v[37:38]
	v_mul_f64 v[122:123], v[77:78], s[30:31]
	v_add_f64 v[29:30], v[118:119], v[29:30]
	v_mul_f64 v[77:78], v[77:78], s[26:27]
	v_fma_f64 v[124:125], v[57:58], s[14:15], -v[122:123]
	v_fma_f64 v[118:119], v[57:58], s[14:15], v[122:123]
	v_add_f64 v[39:40], v[124:125], v[39:40]
	v_mul_f64 v[124:125], v[75:76], s[30:31]
	v_add_f64 v[31:32], v[118:119], v[31:32]
	v_mul_f64 v[75:76], v[75:76], s[26:27]
	v_fma_f64 v[126:127], v[55:56], s[14:15], v[124:125]
	v_fma_f64 v[118:119], v[55:56], s[14:15], -v[124:125]
	v_add_f64 v[37:38], v[126:127], v[37:38]
	v_mul_f64 v[126:127], v[73:74], s[50:51]
	v_add_f64 v[29:30], v[118:119], v[29:30]
	v_mul_f64 v[73:74], v[73:74], s[46:47]
	v_fma_f64 v[128:129], v[51:52], s[28:29], -v[126:127]
	v_fma_f64 v[118:119], v[51:52], s[28:29], v[126:127]
	v_add_f64 v[39:40], v[128:129], v[39:40]
	v_mul_f64 v[128:129], v[71:72], s[50:51]
	v_add_f64 v[31:32], v[118:119], v[31:32]
	v_mul_f64 v[71:72], v[71:72], s[46:47]
	v_fma_f64 v[130:131], v[53:54], s[28:29], v[128:129]
	v_fma_f64 v[118:119], v[53:54], s[28:29], -v[128:129]
	v_add_f64 v[37:38], v[130:131], v[37:38]
	v_mul_f64 v[130:131], v[69:70], s[40:41]
	v_add_f64 v[29:30], v[118:119], v[29:30]
	v_mul_f64 v[69:70], v[69:70], s[20:21]
	v_fma_f64 v[132:133], v[45:46], s[24:25], -v[130:131]
	v_fma_f64 v[118:119], v[45:46], s[24:25], v[130:131]
	v_add_f64 v[39:40], v[132:133], v[39:40]
	v_mul_f64 v[132:133], v[67:68], s[40:41]
	v_add_f64 v[31:32], v[118:119], v[31:32]
	v_mul_f64 v[67:68], v[67:68], s[20:21]
	v_fma_f64 v[118:119], v[47:48], s[24:25], -v[132:133]
	v_fma_f64 v[134:135], v[47:48], s[24:25], v[132:133]
	v_add_f64 v[118:119], v[118:119], v[29:30]
	v_fma_f64 v[29:30], v[41:42], s[12:13], v[136:137]
	v_add_f64 v[134:135], v[134:135], v[37:38]
	v_fma_f64 v[37:38], v[41:42], s[12:13], -v[136:137]
	v_add_f64 v[29:30], v[29:30], v[31:32]
	v_add_f64 v[31:32], v[120:121], v[118:119]
	v_fma_f64 v[118:119], v[61:62], s[24:25], -v[81:82]
	v_fma_f64 v[81:82], v[61:62], s[24:25], v[81:82]
	v_fma_f64 v[61:62], v[61:62], s[14:15], v[107:108]
	v_mul_f64 v[120:121], v[63:64], s[38:39]
	v_add_f64 v[37:38], v[37:38], v[39:40]
	v_fma_f64 v[39:40], v[43:44], s[12:13], v[138:139]
	v_add_f64 v[113:114], v[118:119], v[113:114]
	v_fma_f64 v[118:119], v[59:60], s[24:25], v[79:80]
	v_fma_f64 v[79:80], v[59:60], s[24:25], -v[79:80]
	v_fma_f64 v[59:60], v[59:60], s[14:15], -v[109:110]
	v_add_f64 v[81:82], v[81:82], v[105:106]
	v_add_f64 v[61:62], v[61:62], v[101:102]
	;; [unrolled: 1-line block ×4, first 2 shown]
	v_fma_f64 v[118:119], v[57:58], s[22:23], -v[77:78]
	v_add_f64 v[79:80], v[79:80], v[103:104]
	v_fma_f64 v[77:78], v[57:58], s[22:23], v[77:78]
	v_add_f64 v[59:60], v[59:60], v[99:100]
	v_fma_f64 v[57:58], v[57:58], s[0:1], v[95:96]
	;; [unrolled: 2-line block ×3, first 2 shown]
	v_fma_f64 v[75:76], v[55:56], s[22:23], -v[75:76]
	v_fma_f64 v[55:56], v[55:56], s[0:1], -v[97:98]
	v_add_f64 v[77:78], v[77:78], v[81:82]
	v_add_f64 v[57:58], v[57:58], v[61:62]
	;; [unrolled: 1-line block ×3, first 2 shown]
	v_fma_f64 v[118:119], v[51:52], s[14:15], -v[73:74]
	v_add_f64 v[75:76], v[75:76], v[79:80]
	v_fma_f64 v[73:74], v[51:52], s[14:15], v[73:74]
	v_add_f64 v[55:56], v[55:56], v[59:60]
	v_fma_f64 v[51:52], v[51:52], s[12:13], v[91:92]
	;; [unrolled: 2-line block ×3, first 2 shown]
	v_fma_f64 v[71:72], v[53:54], s[14:15], -v[71:72]
	v_fma_f64 v[53:54], v[53:54], s[12:13], -v[93:94]
	v_add_f64 v[73:74], v[73:74], v[77:78]
	v_add_f64 v[51:52], v[51:52], v[57:58]
	;; [unrolled: 1-line block ×3, first 2 shown]
	v_fma_f64 v[118:119], v[45:46], s[12:13], -v[69:70]
	v_add_f64 v[71:72], v[71:72], v[75:76]
	v_fma_f64 v[69:70], v[45:46], s[12:13], v[69:70]
	v_add_f64 v[53:54], v[53:54], v[55:56]
	v_fma_f64 v[45:46], v[45:46], s[22:23], v[87:88]
	;; [unrolled: 2-line block ×3, first 2 shown]
	v_fma_f64 v[67:68], v[47:48], s[12:13], -v[67:68]
	v_fma_f64 v[47:48], v[47:48], s[22:23], -v[89:90]
	v_add_f64 v[69:70], v[69:70], v[73:74]
	v_fma_f64 v[73:74], v[43:44], s[0:1], -v[120:121]
	v_add_f64 v[45:46], v[45:46], v[51:52]
	v_add_f64 v[111:112], v[118:119], v[111:112]
	v_mul_f64 v[118:119], v[65:66], s[38:39]
	v_fma_f64 v[65:66], v[43:44], s[0:1], v[120:121]
	v_add_f64 v[71:72], v[67:68], v[71:72]
	v_add_f64 v[47:48], v[47:48], v[53:54]
	v_fma_f64 v[43:44], v[43:44], s[28:29], -v[85:86]
	v_fma_f64 v[63:64], v[41:42], s[0:1], -v[118:119]
	v_fma_f64 v[67:68], v[41:42], s[0:1], v[118:119]
	v_fma_f64 v[41:42], v[41:42], s[28:29], v[83:84]
	v_add_f64 v[65:66], v[65:66], v[111:112]
	v_add_f64 v[43:44], v[43:44], v[47:48]
	;; [unrolled: 1-line block ×6, first 2 shown]
	v_mad_u32_u24 v45, 0xd0, v116, v117
	ds_write_b128 v45, v[1:4]
	ds_write_b128 v45, v[9:12] offset:16
	ds_write_b128 v45, v[17:20] offset:32
	;; [unrolled: 1-line block ×7, first 2 shown]
	v_mul_u32_u24_e32 v1, 12, v116
	ds_write_b128 v45, v[29:32] offset:128
	ds_write_b128 v45, v[21:24] offset:144
	;; [unrolled: 1-line block ×4, first 2 shown]
	v_lshlrev_b32_e32 v37, 4, v1
	ds_write_b128 v45, v[41:44] offset:192
	s_waitcnt lgkmcnt(0)
	s_barrier
	buffer_gl0_inv
	s_clause 0x3
	global_load_dwordx4 v[1:4], v37, s[8:9]
	global_load_dwordx4 v[5:8], v37, s[8:9] offset:16
	global_load_dwordx4 v[9:12], v37, s[8:9] offset:32
	;; [unrolled: 1-line block ×3, first 2 shown]
	ds_read_b128 v[17:20], v115 offset:208
	ds_read_b128 v[21:24], v49
	ds_read_b128 v[25:28], v115 offset:416
	ds_read_b128 v[29:32], v115 offset:624
	s_waitcnt vmcnt(3) lgkmcnt(3)
	v_mul_f64 v[33:34], v[19:20], v[3:4]
	v_mul_f64 v[3:4], v[17:18], v[3:4]
	s_waitcnt vmcnt(2) lgkmcnt(1)
	v_mul_f64 v[35:36], v[27:28], v[7:8]
	v_fma_f64 v[17:18], v[17:18], v[1:2], -v[33:34]
	v_fma_f64 v[19:20], v[19:20], v[1:2], v[3:4]
	v_mul_f64 v[1:2], v[25:26], v[7:8]
	s_waitcnt vmcnt(1) lgkmcnt(0)
	v_mul_f64 v[33:34], v[31:32], v[11:12]
	v_mul_f64 v[11:12], v[29:30], v[11:12]
	v_fma_f64 v[51:52], v[25:26], v[5:6], -v[35:36]
	v_add_f64 v[95:96], v[21:22], v[17:18]
	v_add_f64 v[97:98], v[23:24], v[19:20]
	v_fma_f64 v[53:54], v[27:28], v[5:6], v[1:2]
	ds_read_b128 v[5:8], v115 offset:832
	global_load_dwordx4 v[1:4], v37, s[8:9] offset:64
	v_fma_f64 v[55:56], v[29:30], v[9:10], -v[33:34]
	v_fma_f64 v[57:58], v[31:32], v[9:10], v[11:12]
	ds_read_b128 v[9:12], v115 offset:1040
	s_waitcnt vmcnt(1) lgkmcnt(1)
	v_mul_f64 v[25:26], v[7:8], v[15:16]
	v_mul_f64 v[15:16], v[5:6], v[15:16]
	v_fma_f64 v[59:60], v[5:6], v[13:14], -v[25:26]
	v_fma_f64 v[61:62], v[7:8], v[13:14], v[15:16]
	global_load_dwordx4 v[5:8], v37, s[8:9] offset:80
	s_waitcnt vmcnt(1) lgkmcnt(0)
	v_mul_f64 v[13:14], v[11:12], v[3:4]
	v_mul_f64 v[3:4], v[9:10], v[3:4]
	v_fma_f64 v[63:64], v[9:10], v[1:2], -v[13:14]
	v_fma_f64 v[65:66], v[11:12], v[1:2], v[3:4]
	ds_read_b128 v[1:4], v115 offset:1248
	ds_read_b128 v[9:12], v115 offset:1456
	s_waitcnt vmcnt(0) lgkmcnt(1)
	v_mul_f64 v[13:14], v[3:4], v[7:8]
	v_fma_f64 v[67:68], v[1:2], v[5:6], -v[13:14]
	v_mul_f64 v[1:2], v[1:2], v[7:8]
	v_fma_f64 v[69:70], v[3:4], v[5:6], v[1:2]
	s_clause 0x1
	global_load_dwordx4 v[1:4], v37, s[8:9] offset:96
	global_load_dwordx4 v[5:8], v37, s[8:9] offset:112
	s_waitcnt vmcnt(1) lgkmcnt(0)
	v_mul_f64 v[13:14], v[11:12], v[3:4]
	v_mul_f64 v[3:4], v[9:10], v[3:4]
	v_fma_f64 v[71:72], v[9:10], v[1:2], -v[13:14]
	v_fma_f64 v[73:74], v[11:12], v[1:2], v[3:4]
	ds_read_b128 v[1:4], v115 offset:1664
	ds_read_b128 v[9:12], v115 offset:1872
	s_waitcnt vmcnt(0) lgkmcnt(1)
	v_mul_f64 v[13:14], v[3:4], v[7:8]
	v_add_f64 v[152:153], v[67:68], v[71:72]
	v_add_f64 v[150:151], v[69:70], -v[73:74]
	v_add_f64 v[156:157], v[69:70], v[73:74]
	v_fma_f64 v[75:76], v[1:2], v[5:6], -v[13:14]
	v_mul_f64 v[1:2], v[1:2], v[7:8]
	v_add_f64 v[144:145], v[63:64], v[75:76]
	v_fma_f64 v[77:78], v[3:4], v[5:6], v[1:2]
	s_clause 0x1
	global_load_dwordx4 v[1:4], v37, s[8:9] offset:128
	global_load_dwordx4 v[5:8], v37, s[8:9] offset:144
	v_add_f64 v[146:147], v[63:64], -v[75:76]
	v_add_f64 v[142:143], v[65:66], -v[77:78]
	v_add_f64 v[148:149], v[65:66], v[77:78]
	s_waitcnt vmcnt(1) lgkmcnt(0)
	v_mul_f64 v[13:14], v[11:12], v[3:4]
	v_mul_f64 v[3:4], v[9:10], v[3:4]
	v_fma_f64 v[79:80], v[9:10], v[1:2], -v[13:14]
	v_fma_f64 v[81:82], v[11:12], v[1:2], v[3:4]
	ds_read_b128 v[1:4], v115 offset:2080
	ds_read_b128 v[9:12], v115 offset:2288
	s_waitcnt vmcnt(0) lgkmcnt(1)
	v_mul_f64 v[13:14], v[3:4], v[7:8]
	v_add_f64 v[136:137], v[59:60], v[79:80]
	v_add_f64 v[134:135], v[61:62], -v[81:82]
	v_add_f64 v[138:139], v[59:60], -v[79:80]
	v_add_f64 v[140:141], v[61:62], v[81:82]
	v_fma_f64 v[83:84], v[1:2], v[5:6], -v[13:14]
	v_mul_f64 v[1:2], v[1:2], v[7:8]
	v_add_f64 v[128:129], v[55:56], v[83:84]
	v_fma_f64 v[85:86], v[3:4], v[5:6], v[1:2]
	s_clause 0x1
	global_load_dwordx4 v[1:4], v37, s[8:9] offset:160
	global_load_dwordx4 v[5:8], v37, s[8:9] offset:176
	v_add_f64 v[130:131], v[55:56], -v[83:84]
	v_add_f64 v[126:127], v[57:58], -v[85:86]
	v_add_f64 v[132:133], v[57:58], v[85:86]
	s_waitcnt vmcnt(1) lgkmcnt(0)
	v_mul_f64 v[13:14], v[11:12], v[3:4]
	v_mul_f64 v[3:4], v[9:10], v[3:4]
	v_fma_f64 v[87:88], v[9:10], v[1:2], -v[13:14]
	v_fma_f64 v[89:90], v[11:12], v[1:2], v[3:4]
	ds_read_b128 v[1:4], v115 offset:2496
	s_waitcnt vmcnt(0) lgkmcnt(0)
	s_barrier
	buffer_gl0_inv
	v_mul_f64 v[9:10], v[1:2], v[7:8]
	v_add_f64 v[118:119], v[53:54], -v[89:90]
	v_add_f64 v[120:121], v[51:52], v[87:88]
	v_add_f64 v[122:123], v[51:52], -v[87:88]
	v_add_f64 v[124:125], v[53:54], v[89:90]
	v_fma_f64 v[91:92], v[3:4], v[5:6], v[9:10]
	v_mul_f64 v[3:4], v[3:4], v[7:8]
	v_add_f64 v[45:46], v[19:20], v[91:92]
	v_fma_f64 v[93:94], v[1:2], v[5:6], -v[3:4]
	v_add_f64 v[1:2], v[19:20], -v[91:92]
	v_add_f64 v[13:14], v[17:18], v[93:94]
	v_mul_f64 v[3:4], v[1:2], s[42:43]
	v_mul_f64 v[5:6], v[1:2], s[30:31]
	;; [unrolled: 1-line block ×6, first 2 shown]
	v_fma_f64 v[15:16], v[13:14], s[24:25], -v[3:4]
	v_fma_f64 v[3:4], v[13:14], s[24:25], v[3:4]
	v_fma_f64 v[25:26], v[13:14], s[14:15], -v[5:6]
	v_fma_f64 v[5:6], v[13:14], s[14:15], v[5:6]
	;; [unrolled: 2-line block ×6, first 2 shown]
	v_add_f64 v[13:14], v[17:18], -v[93:94]
	v_add_f64 v[15:16], v[21:22], v[15:16]
	v_add_f64 v[3:4], v[21:22], v[3:4]
	;; [unrolled: 1-line block ×7, first 2 shown]
	v_mul_f64 v[11:12], v[126:127], s[34:35]
	v_add_f64 v[113:114], v[21:22], v[1:2]
	v_mul_f64 v[35:36], v[13:14], s[42:43]
	v_mul_f64 v[37:38], v[13:14], s[30:31]
	;; [unrolled: 1-line block ×7, first 2 shown]
	v_add_f64 v[111:112], v[21:22], v[33:34]
	v_fma_f64 v[47:48], v[45:46], s[24:25], v[35:36]
	v_fma_f64 v[35:36], v[45:46], s[24:25], -v[35:36]
	v_fma_f64 v[99:100], v[45:46], s[14:15], v[37:38]
	v_fma_f64 v[37:38], v[45:46], s[14:15], -v[37:38]
	;; [unrolled: 2-line block ×6, first 2 shown]
	v_add_f64 v[45:46], v[21:22], v[5:6]
	v_fma_f64 v[5:6], v[120:121], s[14:15], -v[1:2]
	v_fma_f64 v[1:2], v[120:121], s[14:15], v[1:2]
	v_add_f64 v[17:18], v[23:24], v[47:48]
	v_add_f64 v[19:20], v[23:24], v[35:36]
	;; [unrolled: 1-line block ×8, first 2 shown]
	v_mul_f64 v[9:10], v[122:123], s[30:31]
	v_add_f64 v[39:40], v[23:24], v[39:40]
	v_add_f64 v[41:42], v[23:24], v[41:42]
	;; [unrolled: 1-line block ×3, first 2 shown]
	v_fma_f64 v[13:14], v[128:129], s[0:1], -v[11:12]
	v_add_f64 v[5:6], v[5:6], v[15:16]
	v_add_f64 v[105:106], v[23:24], v[105:106]
	;; [unrolled: 1-line block ×5, first 2 shown]
	v_fma_f64 v[7:8], v[124:125], s[14:15], v[9:10]
	v_fma_f64 v[3:4], v[124:125], s[14:15], -v[9:10]
	v_fma_f64 v[9:10], v[128:129], s[0:1], v[11:12]
	v_add_f64 v[5:6], v[13:14], v[5:6]
	v_mul_f64 v[13:14], v[130:131], s[34:35]
	v_add_f64 v[7:8], v[7:8], v[17:18]
	v_add_f64 v[3:4], v[3:4], v[19:20]
	v_add_f64 v[1:2], v[9:10], v[1:2]
	v_mul_f64 v[19:20], v[126:127], s[36:37]
	v_fma_f64 v[15:16], v[132:133], s[0:1], v[13:14]
	v_fma_f64 v[9:10], v[132:133], s[0:1], -v[13:14]
	v_add_f64 v[7:8], v[15:16], v[7:8]
	v_mul_f64 v[15:16], v[134:135], s[20:21]
	v_add_f64 v[3:4], v[9:10], v[3:4]
	v_fma_f64 v[17:18], v[136:137], s[12:13], -v[15:16]
	v_fma_f64 v[9:10], v[136:137], s[12:13], v[15:16]
	v_fma_f64 v[15:16], v[128:129], s[28:29], -v[19:20]
	v_fma_f64 v[19:20], v[128:129], s[28:29], v[19:20]
	v_add_f64 v[5:6], v[17:18], v[5:6]
	v_mul_f64 v[17:18], v[138:139], s[20:21]
	v_add_f64 v[1:2], v[9:10], v[1:2]
	v_fma_f64 v[21:22], v[140:141], s[12:13], v[17:18]
	v_fma_f64 v[9:10], v[140:141], s[12:13], -v[17:18]
	v_mul_f64 v[17:18], v[122:123], s[20:21]
	v_add_f64 v[7:8], v[21:22], v[7:8]
	v_mul_f64 v[21:22], v[142:143], s[26:27]
	v_add_f64 v[3:4], v[9:10], v[3:4]
	v_fma_f64 v[13:14], v[124:125], s[12:13], v[17:18]
	v_fma_f64 v[17:18], v[124:125], s[12:13], -v[17:18]
	v_fma_f64 v[23:24], v[144:145], s[22:23], -v[21:22]
	v_fma_f64 v[9:10], v[144:145], s[22:23], v[21:22]
	v_mul_f64 v[21:22], v[130:131], s[36:37]
	v_add_f64 v[13:14], v[13:14], v[35:36]
	v_add_f64 v[17:18], v[17:18], v[37:38]
	v_mul_f64 v[35:36], v[146:147], s[38:39]
	v_mul_f64 v[37:38], v[138:139], s[40:41]
	v_add_f64 v[5:6], v[23:24], v[5:6]
	v_mul_f64 v[23:24], v[146:147], s[26:27]
	v_add_f64 v[1:2], v[9:10], v[1:2]
	v_fma_f64 v[33:34], v[148:149], s[22:23], v[23:24]
	v_fma_f64 v[9:10], v[148:149], s[22:23], -v[23:24]
	v_mul_f64 v[23:24], v[134:135], s[44:45]
	v_add_f64 v[7:8], v[33:34], v[7:8]
	v_mul_f64 v[33:34], v[150:151], s[36:37]
	v_add_f64 v[3:4], v[9:10], v[3:4]
	v_fma_f64 v[154:155], v[152:153], s[28:29], -v[33:34]
	v_fma_f64 v[9:10], v[152:153], s[28:29], v[33:34]
	v_mul_f64 v[33:34], v[142:143], s[38:39]
	v_add_f64 v[5:6], v[154:155], v[5:6]
	v_add_f64 v[154:155], v[67:68], -v[71:72]
	v_add_f64 v[1:2], v[9:10], v[1:2]
	v_mul_f64 v[9:10], v[118:119], s[20:21]
	v_mul_f64 v[158:159], v[154:155], s[36:37]
	v_fma_f64 v[11:12], v[156:157], s[28:29], -v[158:159]
	v_fma_f64 v[160:161], v[156:157], s[28:29], v[158:159]
	v_mul_f64 v[158:159], v[150:151], s[40:41]
	v_add_f64 v[3:4], v[11:12], v[3:4]
	v_fma_f64 v[11:12], v[120:121], s[12:13], -v[9:10]
	v_fma_f64 v[9:10], v[120:121], s[12:13], v[9:10]
	v_add_f64 v[7:8], v[160:161], v[7:8]
	v_add_f64 v[11:12], v[11:12], v[25:26]
	v_mul_f64 v[25:26], v[138:139], s[44:45]
	v_add_f64 v[9:10], v[9:10], v[45:46]
	v_mul_f64 v[45:46], v[142:143], s[30:31]
	v_add_f64 v[11:12], v[15:16], v[11:12]
	v_fma_f64 v[15:16], v[132:133], s[28:29], v[21:22]
	v_add_f64 v[9:10], v[19:20], v[9:10]
	v_fma_f64 v[19:20], v[132:133], s[28:29], -v[21:22]
	v_add_f64 v[13:14], v[15:16], v[13:14]
	v_fma_f64 v[15:16], v[136:137], s[22:23], -v[23:24]
	v_add_f64 v[17:18], v[19:20], v[17:18]
	v_fma_f64 v[19:20], v[136:137], s[22:23], v[23:24]
	v_add_f64 v[11:12], v[15:16], v[11:12]
	v_fma_f64 v[15:16], v[140:141], s[22:23], v[25:26]
	v_add_f64 v[9:10], v[19:20], v[9:10]
	v_fma_f64 v[19:20], v[140:141], s[22:23], -v[25:26]
	v_mul_f64 v[25:26], v[122:123], s[36:37]
	v_add_f64 v[13:14], v[15:16], v[13:14]
	v_fma_f64 v[15:16], v[144:145], s[0:1], -v[33:34]
	v_add_f64 v[17:18], v[19:20], v[17:18]
	v_fma_f64 v[19:20], v[144:145], s[0:1], v[33:34]
	v_fma_f64 v[21:22], v[124:125], s[28:29], v[25:26]
	v_mul_f64 v[33:34], v[130:131], s[48:49]
	v_fma_f64 v[25:26], v[124:125], s[28:29], -v[25:26]
	v_add_f64 v[11:12], v[15:16], v[11:12]
	v_fma_f64 v[15:16], v[148:149], s[0:1], v[35:36]
	v_add_f64 v[9:10], v[19:20], v[9:10]
	v_fma_f64 v[19:20], v[148:149], s[0:1], -v[35:36]
	v_add_f64 v[21:22], v[21:22], v[47:48]
	v_mul_f64 v[35:36], v[134:135], s[40:41]
	v_add_f64 v[25:26], v[25:26], v[39:40]
	v_mul_f64 v[47:48], v[146:147], s[30:31]
	v_mul_f64 v[39:40], v[130:131], s[40:41]
	v_add_f64 v[15:16], v[15:16], v[13:14]
	v_fma_f64 v[13:14], v[152:153], s[24:25], -v[158:159]
	v_add_f64 v[17:18], v[19:20], v[17:18]
	v_fma_f64 v[19:20], v[152:153], s[24:25], v[158:159]
	v_mul_f64 v[158:159], v[150:151], s[26:27]
	v_add_f64 v[13:14], v[13:14], v[11:12]
	v_mul_f64 v[11:12], v[154:155], s[40:41]
	v_add_f64 v[9:10], v[19:20], v[9:10]
	v_fma_f64 v[160:161], v[156:157], s[24:25], v[11:12]
	v_fma_f64 v[11:12], v[156:157], s[24:25], -v[11:12]
	v_add_f64 v[15:16], v[160:161], v[15:16]
	v_add_f64 v[11:12], v[11:12], v[17:18]
	v_mul_f64 v[17:18], v[118:119], s[36:37]
	v_fma_f64 v[19:20], v[120:121], s[28:29], -v[17:18]
	v_fma_f64 v[17:18], v[120:121], s[28:29], v[17:18]
	v_add_f64 v[19:20], v[19:20], v[27:28]
	v_mul_f64 v[27:28], v[126:127], s[48:49]
	v_add_f64 v[17:18], v[17:18], v[99:100]
	v_mul_f64 v[99:100], v[142:143], s[50:51]
	v_fma_f64 v[23:24], v[128:129], s[12:13], -v[27:28]
	v_fma_f64 v[27:28], v[128:129], s[12:13], v[27:28]
	v_add_f64 v[19:20], v[23:24], v[19:20]
	v_fma_f64 v[23:24], v[132:133], s[12:13], v[33:34]
	v_add_f64 v[17:18], v[27:28], v[17:18]
	v_fma_f64 v[27:28], v[132:133], s[12:13], -v[33:34]
	v_add_f64 v[21:22], v[23:24], v[21:22]
	v_fma_f64 v[23:24], v[136:137], s[24:25], -v[35:36]
	v_add_f64 v[25:26], v[27:28], v[25:26]
	v_fma_f64 v[27:28], v[136:137], s[24:25], v[35:36]
	v_add_f64 v[19:20], v[23:24], v[19:20]
	v_fma_f64 v[23:24], v[140:141], s[24:25], v[37:38]
	v_add_f64 v[17:18], v[27:28], v[17:18]
	v_fma_f64 v[27:28], v[140:141], s[24:25], -v[37:38]
	v_mul_f64 v[37:38], v[126:127], s[40:41]
	v_add_f64 v[21:22], v[23:24], v[21:22]
	v_fma_f64 v[23:24], v[144:145], s[14:15], -v[45:46]
	v_add_f64 v[25:26], v[27:28], v[25:26]
	v_fma_f64 v[27:28], v[144:145], s[14:15], v[45:46]
	v_fma_f64 v[35:36], v[128:129], s[24:25], -v[37:38]
	v_mul_f64 v[45:46], v[134:135], s[34:35]
	v_fma_f64 v[37:38], v[128:129], s[24:25], v[37:38]
	v_add_f64 v[19:20], v[23:24], v[19:20]
	v_fma_f64 v[23:24], v[148:149], s[14:15], v[47:48]
	v_add_f64 v[17:18], v[27:28], v[17:18]
	v_fma_f64 v[27:28], v[148:149], s[14:15], -v[47:48]
	v_mul_f64 v[47:48], v[138:139], s[34:35]
	v_add_f64 v[23:24], v[23:24], v[21:22]
	v_fma_f64 v[21:22], v[152:153], s[22:23], -v[158:159]
	v_add_f64 v[25:26], v[27:28], v[25:26]
	v_fma_f64 v[27:28], v[152:153], s[22:23], v[158:159]
	v_mul_f64 v[158:159], v[150:151], s[46:47]
	v_add_f64 v[21:22], v[21:22], v[19:20]
	v_mul_f64 v[19:20], v[154:155], s[26:27]
	v_add_f64 v[17:18], v[27:28], v[17:18]
	v_fma_f64 v[160:161], v[156:157], s[22:23], v[19:20]
	v_fma_f64 v[19:20], v[156:157], s[22:23], -v[19:20]
	v_add_f64 v[23:24], v[160:161], v[23:24]
	v_add_f64 v[19:20], v[19:20], v[25:26]
	v_mul_f64 v[25:26], v[118:119], s[44:45]
	v_fma_f64 v[27:28], v[120:121], s[22:23], -v[25:26]
	v_fma_f64 v[25:26], v[120:121], s[22:23], v[25:26]
	v_add_f64 v[27:28], v[27:28], v[29:30]
	v_mul_f64 v[29:30], v[122:123], s[44:45]
	v_add_f64 v[25:26], v[25:26], v[103:104]
	v_add_f64 v[27:28], v[35:36], v[27:28]
	v_fma_f64 v[33:34], v[124:125], s[22:23], v[29:30]
	v_fma_f64 v[35:36], v[132:133], s[24:25], v[39:40]
	v_fma_f64 v[29:30], v[124:125], s[22:23], -v[29:30]
	v_add_f64 v[25:26], v[37:38], v[25:26]
	v_fma_f64 v[37:38], v[132:133], s[24:25], -v[39:40]
	v_mul_f64 v[39:40], v[122:123], s[38:39]
	v_add_f64 v[33:34], v[33:34], v[101:102]
	v_mul_f64 v[101:102], v[146:147], s[50:51]
	v_add_f64 v[29:30], v[29:30], v[41:42]
	;; [unrolled: 2-line block ×3, first 2 shown]
	v_fma_f64 v[35:36], v[136:137], s[0:1], -v[45:46]
	v_add_f64 v[29:30], v[37:38], v[29:30]
	v_fma_f64 v[37:38], v[136:137], s[0:1], v[45:46]
	v_fma_f64 v[45:46], v[128:129], s[14:15], -v[41:42]
	v_fma_f64 v[41:42], v[128:129], s[14:15], v[41:42]
	v_add_f64 v[27:28], v[35:36], v[27:28]
	v_fma_f64 v[35:36], v[140:141], s[0:1], v[47:48]
	v_add_f64 v[25:26], v[37:38], v[25:26]
	v_fma_f64 v[37:38], v[140:141], s[0:1], -v[47:48]
	v_add_f64 v[33:34], v[35:36], v[33:34]
	v_fma_f64 v[35:36], v[144:145], s[28:29], -v[99:100]
	v_add_f64 v[29:30], v[37:38], v[29:30]
	v_fma_f64 v[37:38], v[144:145], s[28:29], v[99:100]
	v_add_f64 v[27:28], v[35:36], v[27:28]
	v_fma_f64 v[35:36], v[148:149], s[28:29], v[101:102]
	v_add_f64 v[25:26], v[37:38], v[25:26]
	v_fma_f64 v[37:38], v[148:149], s[28:29], -v[101:102]
	v_add_f64 v[35:36], v[35:36], v[33:34]
	v_fma_f64 v[33:34], v[152:153], s[14:15], -v[158:159]
	v_add_f64 v[29:30], v[37:38], v[29:30]
	v_fma_f64 v[37:38], v[152:153], s[14:15], v[158:159]
	v_add_f64 v[33:34], v[33:34], v[27:28]
	v_mul_f64 v[27:28], v[154:155], s[46:47]
	v_add_f64 v[25:26], v[37:38], v[25:26]
	v_mul_f64 v[37:38], v[118:119], s[38:39]
	v_fma_f64 v[160:161], v[156:157], s[14:15], v[27:28]
	v_fma_f64 v[27:28], v[156:157], s[14:15], -v[27:28]
	v_add_f64 v[35:36], v[160:161], v[35:36]
	v_add_f64 v[27:28], v[27:28], v[29:30]
	v_fma_f64 v[29:30], v[120:121], s[0:1], -v[37:38]
	v_fma_f64 v[37:38], v[120:121], s[0:1], v[37:38]
	ds_write_b128 v115, v[5:8] offset:208
	ds_write_b128 v115, v[13:16] offset:416
	;; [unrolled: 1-line block ×4, first 2 shown]
	v_add_f64 v[5:6], v[95:96], v[51:52]
	v_add_f64 v[7:8], v[97:98], v[53:54]
	v_mul_u32_u24_e32 v13, 0x1556, v0
	v_add_f64 v[29:30], v[29:30], v[31:32]
	v_fma_f64 v[31:32], v[124:125], s[0:1], v[39:40]
	v_add_f64 v[37:38], v[37:38], v[109:110]
	v_fma_f64 v[39:40], v[124:125], s[0:1], -v[39:40]
	v_lshrrev_b32_e32 v16, 16, v13
	v_mul_lo_u16 v13, v16, 12
	v_mul_lo_u32 v49, s19, v16
	s_mul_i32 s19, s19, 13
	v_sub_nc_u16 v21, v0, v13
	v_add_f64 v[5:6], v[5:6], v[55:56]
	v_add_f64 v[7:8], v[7:8], v[57:58]
	v_and_b32_e32 v15, 0xffff, v21
	v_add_f64 v[29:30], v[45:46], v[29:30]
	v_mul_f64 v[45:46], v[130:131], s[30:31]
	v_add_f64 v[31:32], v[31:32], v[105:106]
	v_add_f64 v[39:40], v[39:40], v[43:44]
	;; [unrolled: 1-line block ×3, first 2 shown]
	v_mad_u64_u32 v[13:14], null, s16, v15, 0
	v_mov_b32_e32 v0, v14
	v_add_f64 v[5:6], v[5:6], v[59:60]
	v_add_f64 v[7:8], v[7:8], v[61:62]
	v_mad_u64_u32 v[14:15], null, s17, v15, v[0:1]
	v_mov_b32_e32 v0, 4
	v_fma_f64 v[47:48], v[132:133], s[14:15], v[45:46]
	v_fma_f64 v[41:42], v[132:133], s[14:15], -v[45:46]
	v_mul_f64 v[45:46], v[118:119], s[40:41]
	v_mul_f64 v[118:119], v[154:155], s[38:39]
	v_mul_lo_u16 v15, 0xa9, v21
	v_lshlrev_b32_e32 v21, 4, v16
	v_lshlrev_b32_sdwa v15, v0, v15 dst_sel:DWORD dst_unused:UNUSED_PAD src0_sel:DWORD src1_sel:WORD_0
	v_add3_u32 v22, 0, v15, v21
	v_add_f64 v[5:6], v[5:6], v[63:64]
	v_add_f64 v[7:8], v[7:8], v[65:66]
	;; [unrolled: 1-line block ×3, first 2 shown]
	v_mul_f64 v[47:48], v[134:135], s[50:51]
	v_add_f64 v[39:40], v[41:42], v[39:40]
	v_add_f64 v[5:6], v[5:6], v[67:68]
	v_add_f64 v[7:8], v[7:8], v[69:70]
	v_fma_f64 v[99:100], v[136:137], s[28:29], -v[47:48]
	v_fma_f64 v[41:42], v[136:137], s[28:29], v[47:48]
	v_mul_f64 v[47:48], v[122:123], s[40:41]
	v_add_f64 v[5:6], v[5:6], v[71:72]
	v_add_f64 v[7:8], v[7:8], v[73:74]
	;; [unrolled: 1-line block ×3, first 2 shown]
	v_mul_f64 v[99:100], v[138:139], s[50:51]
	v_add_f64 v[37:38], v[41:42], v[37:38]
	v_add_f64 v[5:6], v[5:6], v[75:76]
	;; [unrolled: 1-line block ×3, first 2 shown]
	v_fma_f64 v[101:102], v[140:141], s[28:29], v[99:100]
	v_fma_f64 v[41:42], v[140:141], s[28:29], -v[99:100]
	v_mul_f64 v[99:100], v[126:127], s[26:27]
	v_add_f64 v[5:6], v[5:6], v[79:80]
	v_add_f64 v[7:8], v[7:8], v[81:82]
	;; [unrolled: 1-line block ×3, first 2 shown]
	v_mul_f64 v[101:102], v[142:143], s[40:41]
	v_add_f64 v[39:40], v[41:42], v[39:40]
	v_add_f64 v[5:6], v[5:6], v[83:84]
	;; [unrolled: 1-line block ×3, first 2 shown]
	v_fma_f64 v[103:104], v[144:145], s[24:25], -v[101:102]
	v_fma_f64 v[41:42], v[144:145], s[24:25], v[101:102]
	v_fma_f64 v[101:102], v[128:129], s[22:23], -v[99:100]
	v_fma_f64 v[99:100], v[128:129], s[22:23], v[99:100]
	v_add_f64 v[5:6], v[5:6], v[87:88]
	v_add_f64 v[7:8], v[7:8], v[89:90]
	;; [unrolled: 1-line block ×3, first 2 shown]
	v_mul_f64 v[103:104], v[146:147], s[40:41]
	v_add_f64 v[37:38], v[41:42], v[37:38]
	v_add_f64 v[5:6], v[5:6], v[93:94]
	;; [unrolled: 1-line block ×3, first 2 shown]
	v_fma_f64 v[105:106], v[148:149], s[24:25], v[103:104]
	v_fma_f64 v[41:42], v[148:149], s[24:25], -v[103:104]
	v_add_f64 v[31:32], v[105:106], v[31:32]
	v_mul_f64 v[105:106], v[150:151], s[20:21]
	v_add_f64 v[39:40], v[41:42], v[39:40]
	v_fma_f64 v[158:159], v[152:153], s[12:13], -v[105:106]
	v_fma_f64 v[41:42], v[152:153], s[12:13], v[105:106]
	v_add_f64 v[29:30], v[158:159], v[29:30]
	v_mul_f64 v[158:159], v[154:155], s[20:21]
	v_add_f64 v[37:38], v[41:42], v[37:38]
	v_fma_f64 v[41:42], v[120:121], s[24:25], -v[45:46]
	v_fma_f64 v[45:46], v[120:121], s[24:25], v[45:46]
	v_fma_f64 v[43:44], v[156:157], s[12:13], -v[158:159]
	v_fma_f64 v[160:161], v[156:157], s[12:13], v[158:159]
	v_add_f64 v[41:42], v[41:42], v[111:112]
	v_add_f64 v[45:46], v[45:46], v[113:114]
	;; [unrolled: 1-line block ×3, first 2 shown]
	v_fma_f64 v[43:44], v[124:125], s[24:25], v[47:48]
	v_add_f64 v[41:42], v[101:102], v[41:42]
	v_mul_f64 v[101:102], v[130:131], s[26:27]
	v_fma_f64 v[47:48], v[124:125], s[24:25], -v[47:48]
	v_add_f64 v[45:46], v[99:100], v[45:46]
	v_add_f64 v[31:32], v[160:161], v[31:32]
	;; [unrolled: 1-line block ×3, first 2 shown]
	v_fma_f64 v[103:104], v[132:133], s[22:23], v[101:102]
	v_add_f64 v[47:48], v[47:48], v[116:117]
	v_fma_f64 v[101:102], v[132:133], s[22:23], -v[101:102]
	v_add_f64 v[43:44], v[103:104], v[43:44]
	v_mul_f64 v[103:104], v[134:135], s[46:47]
	v_add_f64 v[47:48], v[101:102], v[47:48]
	v_fma_f64 v[105:106], v[136:137], s[14:15], -v[103:104]
	v_fma_f64 v[99:100], v[136:137], s[14:15], v[103:104]
	v_fma_f64 v[103:104], v[156:157], s[0:1], -v[118:119]
	v_add_f64 v[41:42], v[105:106], v[41:42]
	v_mul_f64 v[105:106], v[138:139], s[46:47]
	v_add_f64 v[45:46], v[99:100], v[45:46]
	v_fma_f64 v[107:108], v[140:141], s[14:15], v[105:106]
	v_fma_f64 v[101:102], v[140:141], s[14:15], -v[105:106]
	v_add_f64 v[43:44], v[107:108], v[43:44]
	v_mul_f64 v[107:108], v[142:143], s[20:21]
	v_add_f64 v[47:48], v[101:102], v[47:48]
	v_fma_f64 v[109:110], v[144:145], s[12:13], -v[107:108]
	v_fma_f64 v[99:100], v[144:145], s[12:13], v[107:108]
	v_add_f64 v[41:42], v[109:110], v[41:42]
	v_mul_f64 v[109:110], v[146:147], s[20:21]
	v_add_f64 v[45:46], v[99:100], v[45:46]
	v_fma_f64 v[111:112], v[148:149], s[12:13], v[109:110]
	v_fma_f64 v[101:102], v[148:149], s[12:13], -v[109:110]
	v_add_f64 v[43:44], v[111:112], v[43:44]
	v_mul_f64 v[111:112], v[150:151], s[38:39]
	v_add_f64 v[47:48], v[101:102], v[47:48]
	v_fma_f64 v[122:123], v[152:153], s[0:1], -v[111:112]
	v_fma_f64 v[99:100], v[152:153], s[0:1], v[111:112]
	v_add_f64 v[47:48], v[103:104], v[47:48]
	v_add_f64 v[41:42], v[122:123], v[41:42]
	v_fma_f64 v[122:123], v[156:157], s[0:1], v[118:119]
	v_add_f64 v[45:46], v[99:100], v[45:46]
	s_lshl_b64 s[0:1], s[10:11], 4
	s_add_u32 s2, s2, s0
	s_addc_u32 s3, s3, s1
	s_lshl_b64 s[0:1], s[4:5], 4
	s_add_u32 s2, s2, s0
	s_addc_u32 s3, s3, s1
	;; [unrolled: 3-line block ×3, first 2 shown]
	v_add_f64 v[43:44], v[122:123], v[43:44]
	ds_write_b128 v115, v[29:32] offset:1040
	ds_write_b128 v115, v[41:44] offset:1248
	ds_write_b128 v115, v[45:48] offset:1456
	ds_write_b128 v115, v[37:40] offset:1664
	ds_write_b128 v115, v[25:28] offset:1872
	ds_write_b128 v115, v[17:20] offset:2080
	ds_write_b128 v115, v[9:12] offset:2288
	ds_write_b128 v115, v[1:4] offset:2496
	ds_write_b128 v115, v[5:8]
	v_lshlrev_b64 v[0:1], 4, v[13:14]
	v_lshlrev_b64 v[2:3], 4, v[49:50]
	v_add_nc_u32_e32 v49, s19, v49
	v_add3_u32 v26, 0, v21, v15
	s_waitcnt lgkmcnt(0)
	s_barrier
	v_add_co_u32 v30, vcc_lo, s0, v0
	v_add_co_ci_u32_e32 v31, vcc_lo, s1, v1, vcc_lo
	buffer_gl0_inv
	v_add_co_u32 v18, vcc_lo, v30, v2
	v_lshlrev_b64 v[16:17], 4, v[49:50]
	v_add_nc_u32_e32 v49, s19, v49
	v_add_co_ci_u32_e32 v19, vcc_lo, v31, v3, vcc_lo
	ds_read_b128 v[0:3], v22
	ds_read_b128 v[4:7], v26 offset:208
	ds_read_b128 v[8:11], v26 offset:416
	;; [unrolled: 1-line block ×3, first 2 shown]
	v_lshlrev_b64 v[20:21], 4, v[49:50]
	v_add_nc_u32_e32 v49, s19, v49
	v_add_co_u32 v16, vcc_lo, v30, v16
	v_add_co_ci_u32_e32 v17, vcc_lo, v31, v17, vcc_lo
	v_lshlrev_b64 v[22:23], 4, v[49:50]
	v_add_nc_u32_e32 v49, s19, v49
	v_add_co_u32 v20, vcc_lo, v30, v20
	v_add_co_ci_u32_e32 v21, vcc_lo, v31, v21, vcc_lo
	v_add_co_u32 v22, vcc_lo, v30, v22
	v_lshlrev_b64 v[24:25], 4, v[49:50]
	v_add_nc_u32_e32 v49, s19, v49
	v_add_co_ci_u32_e32 v23, vcc_lo, v31, v23, vcc_lo
	s_waitcnt lgkmcnt(3)
	global_store_dwordx4 v[18:19], v[0:3], off
	s_waitcnt lgkmcnt(2)
	global_store_dwordx4 v[16:17], v[4:7], off
	;; [unrolled: 2-line block ×4, first 2 shown]
	v_lshlrev_b64 v[16:17], 4, v[49:50]
	v_add_nc_u32_e32 v49, s19, v49
	ds_read_b128 v[0:3], v26 offset:832
	ds_read_b128 v[4:7], v26 offset:1040
	;; [unrolled: 1-line block ×4, first 2 shown]
	v_add_co_u32 v18, vcc_lo, v30, v24
	v_lshlrev_b64 v[20:21], 4, v[49:50]
	v_add_nc_u32_e32 v49, s19, v49
	v_add_co_ci_u32_e32 v19, vcc_lo, v31, v25, vcc_lo
	v_add_co_u32 v16, vcc_lo, v30, v16
	v_lshlrev_b64 v[22:23], 4, v[49:50]
	v_add_nc_u32_e32 v49, s19, v49
	v_add_co_ci_u32_e32 v17, vcc_lo, v31, v17, vcc_lo
	v_add_co_u32 v20, vcc_lo, v30, v20
	v_add_co_ci_u32_e32 v21, vcc_lo, v31, v21, vcc_lo
	v_lshlrev_b64 v[24:25], 4, v[49:50]
	v_add_nc_u32_e32 v49, s19, v49
	v_add_co_u32 v22, vcc_lo, v30, v22
	v_add_co_ci_u32_e32 v23, vcc_lo, v31, v23, vcc_lo
	s_waitcnt lgkmcnt(3)
	global_store_dwordx4 v[18:19], v[0:3], off
	s_waitcnt lgkmcnt(2)
	global_store_dwordx4 v[16:17], v[4:7], off
	;; [unrolled: 2-line block ×4, first 2 shown]
	v_lshlrev_b64 v[8:9], 4, v[49:50]
	v_add_co_u32 v20, vcc_lo, v30, v24
	v_add_nc_u32_e32 v49, s19, v49
	v_add_co_ci_u32_e32 v21, vcc_lo, v31, v25, vcc_lo
	v_add_co_u32 v24, vcc_lo, v30, v8
	ds_read_b128 v[0:3], v26 offset:1664
	ds_read_b128 v[4:7], v26 offset:1872
	v_add_co_ci_u32_e32 v25, vcc_lo, v31, v9, vcc_lo
	ds_read_b128 v[8:11], v26 offset:2080
	ds_read_b128 v[12:15], v26 offset:2288
	;; [unrolled: 1-line block ×3, first 2 shown]
	v_lshlrev_b64 v[22:23], 4, v[49:50]
	v_add_nc_u32_e32 v49, s19, v49
	v_lshlrev_b64 v[26:27], 4, v[49:50]
	v_add_nc_u32_e32 v49, s19, v49
	v_add_co_u32 v22, vcc_lo, v30, v22
	v_add_co_ci_u32_e32 v23, vcc_lo, v31, v23, vcc_lo
	v_lshlrev_b64 v[28:29], 4, v[49:50]
	v_add_co_u32 v26, vcc_lo, v30, v26
	v_add_co_ci_u32_e32 v27, vcc_lo, v31, v27, vcc_lo
	v_add_co_u32 v28, vcc_lo, v30, v28
	v_add_co_ci_u32_e32 v29, vcc_lo, v31, v29, vcc_lo
	s_waitcnt lgkmcnt(4)
	global_store_dwordx4 v[20:21], v[0:3], off
	s_waitcnt lgkmcnt(3)
	global_store_dwordx4 v[24:25], v[4:7], off
	;; [unrolled: 2-line block ×5, first 2 shown]
	s_endpgm
	.section	.rodata,"a",@progbits
	.p2align	6, 0x0
	.amdhsa_kernel fft_rtc_fwd_len169_factors_13_13_wgs_156_tpt_13_dp_op_CI_CI_sbrc_z_xy_diag
		.amdhsa_group_segment_fixed_size 0
		.amdhsa_private_segment_fixed_size 0
		.amdhsa_kernarg_size 104
		.amdhsa_user_sgpr_count 6
		.amdhsa_user_sgpr_private_segment_buffer 1
		.amdhsa_user_sgpr_dispatch_ptr 0
		.amdhsa_user_sgpr_queue_ptr 0
		.amdhsa_user_sgpr_kernarg_segment_ptr 1
		.amdhsa_user_sgpr_dispatch_id 0
		.amdhsa_user_sgpr_flat_scratch_init 0
		.amdhsa_user_sgpr_private_segment_size 0
		.amdhsa_wavefront_size32 1
		.amdhsa_uses_dynamic_stack 0
		.amdhsa_system_sgpr_private_segment_wavefront_offset 0
		.amdhsa_system_sgpr_workgroup_id_x 1
		.amdhsa_system_sgpr_workgroup_id_y 0
		.amdhsa_system_sgpr_workgroup_id_z 0
		.amdhsa_system_sgpr_workgroup_info 0
		.amdhsa_system_vgpr_workitem_id 0
		.amdhsa_next_free_vgpr 162
		.amdhsa_next_free_sgpr 53
		.amdhsa_reserve_vcc 1
		.amdhsa_reserve_flat_scratch 0
		.amdhsa_float_round_mode_32 0
		.amdhsa_float_round_mode_16_64 0
		.amdhsa_float_denorm_mode_32 3
		.amdhsa_float_denorm_mode_16_64 3
		.amdhsa_dx10_clamp 1
		.amdhsa_ieee_mode 1
		.amdhsa_fp16_overflow 0
		.amdhsa_workgroup_processor_mode 1
		.amdhsa_memory_ordered 1
		.amdhsa_forward_progress 0
		.amdhsa_shared_vgpr_count 0
		.amdhsa_exception_fp_ieee_invalid_op 0
		.amdhsa_exception_fp_denorm_src 0
		.amdhsa_exception_fp_ieee_div_zero 0
		.amdhsa_exception_fp_ieee_overflow 0
		.amdhsa_exception_fp_ieee_underflow 0
		.amdhsa_exception_fp_ieee_inexact 0
		.amdhsa_exception_int_div_zero 0
	.end_amdhsa_kernel
	.text
.Lfunc_end0:
	.size	fft_rtc_fwd_len169_factors_13_13_wgs_156_tpt_13_dp_op_CI_CI_sbrc_z_xy_diag, .Lfunc_end0-fft_rtc_fwd_len169_factors_13_13_wgs_156_tpt_13_dp_op_CI_CI_sbrc_z_xy_diag
                                        ; -- End function
	.section	.AMDGPU.csdata,"",@progbits
; Kernel info:
; codeLenInByte = 10948
; NumSgprs: 55
; NumVgprs: 162
; ScratchSize: 0
; MemoryBound: 0
; FloatMode: 240
; IeeeMode: 1
; LDSByteSize: 0 bytes/workgroup (compile time only)
; SGPRBlocks: 6
; VGPRBlocks: 20
; NumSGPRsForWavesPerEU: 55
; NumVGPRsForWavesPerEU: 162
; Occupancy: 5
; WaveLimiterHint : 1
; COMPUTE_PGM_RSRC2:SCRATCH_EN: 0
; COMPUTE_PGM_RSRC2:USER_SGPR: 6
; COMPUTE_PGM_RSRC2:TRAP_HANDLER: 0
; COMPUTE_PGM_RSRC2:TGID_X_EN: 1
; COMPUTE_PGM_RSRC2:TGID_Y_EN: 0
; COMPUTE_PGM_RSRC2:TGID_Z_EN: 0
; COMPUTE_PGM_RSRC2:TIDIG_COMP_CNT: 0
	.text
	.p2alignl 6, 3214868480
	.fill 48, 4, 3214868480
	.type	__hip_cuid_8c124abf7a4dc4a8,@object ; @__hip_cuid_8c124abf7a4dc4a8
	.section	.bss,"aw",@nobits
	.globl	__hip_cuid_8c124abf7a4dc4a8
__hip_cuid_8c124abf7a4dc4a8:
	.byte	0                               ; 0x0
	.size	__hip_cuid_8c124abf7a4dc4a8, 1

	.ident	"AMD clang version 19.0.0git (https://github.com/RadeonOpenCompute/llvm-project roc-6.4.0 25133 c7fe45cf4b819c5991fe208aaa96edf142730f1d)"
	.section	".note.GNU-stack","",@progbits
	.addrsig
	.addrsig_sym __hip_cuid_8c124abf7a4dc4a8
	.amdgpu_metadata
---
amdhsa.kernels:
  - .args:
      - .actual_access:  read_only
        .address_space:  global
        .offset:         0
        .size:           8
        .value_kind:     global_buffer
      - .offset:         8
        .size:           8
        .value_kind:     by_value
      - .actual_access:  read_only
        .address_space:  global
        .offset:         16
        .size:           8
        .value_kind:     global_buffer
      - .actual_access:  read_only
        .address_space:  global
        .offset:         24
        .size:           8
        .value_kind:     global_buffer
      - .actual_access:  read_only
        .address_space:  global
        .offset:         32
        .size:           8
        .value_kind:     global_buffer
      - .offset:         40
        .size:           8
        .value_kind:     by_value
      - .actual_access:  read_only
        .address_space:  global
        .offset:         48
        .size:           8
        .value_kind:     global_buffer
      - .actual_access:  read_only
        .address_space:  global
        .offset:         56
        .size:           8
        .value_kind:     global_buffer
      - .offset:         64
        .size:           4
        .value_kind:     by_value
      - .actual_access:  read_only
        .address_space:  global
        .offset:         72
        .size:           8
        .value_kind:     global_buffer
      - .actual_access:  read_only
        .address_space:  global
        .offset:         80
        .size:           8
        .value_kind:     global_buffer
      - .actual_access:  read_only
        .address_space:  global
        .offset:         88
        .size:           8
        .value_kind:     global_buffer
      - .actual_access:  write_only
        .address_space:  global
        .offset:         96
        .size:           8
        .value_kind:     global_buffer
    .group_segment_fixed_size: 0
    .kernarg_segment_align: 8
    .kernarg_segment_size: 104
    .language:       OpenCL C
    .language_version:
      - 2
      - 0
    .max_flat_workgroup_size: 156
    .name:           fft_rtc_fwd_len169_factors_13_13_wgs_156_tpt_13_dp_op_CI_CI_sbrc_z_xy_diag
    .private_segment_fixed_size: 0
    .sgpr_count:     55
    .sgpr_spill_count: 0
    .symbol:         fft_rtc_fwd_len169_factors_13_13_wgs_156_tpt_13_dp_op_CI_CI_sbrc_z_xy_diag.kd
    .uniform_work_group_size: 1
    .uses_dynamic_stack: false
    .vgpr_count:     162
    .vgpr_spill_count: 0
    .wavefront_size: 32
    .workgroup_processor_mode: 1
amdhsa.target:   amdgcn-amd-amdhsa--gfx1030
amdhsa.version:
  - 1
  - 2
...

	.end_amdgpu_metadata
